;; amdgpu-corpus repo=zjin-lcf/HeCBench kind=compiled arch=gfx950 opt=O3
	.amdgcn_target "amdgcn-amd-amdhsa--gfx950"
	.amdhsa_code_object_version 6
	.section	.text._Z24reshape_and_cache_kernelIfhL18Fp8KVCacheDataType1EEvPKT_S3_PT0_S5_PKliiiiiiff,"axG",@progbits,_Z24reshape_and_cache_kernelIfhL18Fp8KVCacheDataType1EEvPKT_S3_PT0_S5_PKliiiiiiff,comdat
	.protected	_Z24reshape_and_cache_kernelIfhL18Fp8KVCacheDataType1EEvPKT_S3_PT0_S5_PKliiiiiiff ; -- Begin function _Z24reshape_and_cache_kernelIfhL18Fp8KVCacheDataType1EEvPKT_S3_PT0_S5_PKliiiiiiff
	.globl	_Z24reshape_and_cache_kernelIfhL18Fp8KVCacheDataType1EEvPKT_S3_PT0_S5_PKliiiiiiff
	.p2align	8
	.type	_Z24reshape_and_cache_kernelIfhL18Fp8KVCacheDataType1EEvPKT_S3_PT0_S5_PKliiiiiiff,@function
_Z24reshape_and_cache_kernelIfhL18Fp8KVCacheDataType1EEvPKT_S3_PT0_S5_PKliiiiiiff: ; @_Z24reshape_and_cache_kernelIfhL18Fp8KVCacheDataType1EEvPKT_S3_PT0_S5_PKliiiiiiff
; %bb.0:
	s_load_dwordx2 s[4:5], s[0:1], 0x20
	s_mov_b32 s3, 0
	s_lshl_b64 s[6:7], s[2:3], 3
	s_waitcnt lgkmcnt(0)
	s_add_u32 s4, s4, s6
	s_addc_u32 s5, s5, s7
	s_load_dwordx2 s[4:5], s[4:5], 0x0
	s_waitcnt lgkmcnt(0)
	v_cmp_lt_i64_e64 s[4:5], s[4:5], 0
	s_and_b64 vcc, exec, s[4:5]
	s_cbranch_vccnz .LBB0_10
; %bb.1:
	s_load_dword s33, s[0:1], 0x3c
	s_load_dwordx2 s[4:5], s[0:1], 0x30
	s_waitcnt lgkmcnt(0)
	s_abs_i32 s3, s33
	v_cvt_f32_u32_e32 v1, s3
	s_sub_i32 s8, 0, s3
	s_abs_i32 s7, s5
	s_xor_b32 s6, s5, s33
	v_rcp_iflag_f32_e32 v1, v1
	s_ashr_i32 s6, s6, 31
	v_mul_f32_e32 v1, 0x4f7ffffe, v1
	v_cvt_u32_f32_e32 v1, v1
	s_nop 0
	v_readfirstlane_b32 s9, v1
	s_mul_i32 s8, s8, s9
	s_mul_hi_u32 s8, s9, s8
	s_add_i32 s9, s9, s8
	s_mul_hi_u32 s8, s7, s9
	s_mul_i32 s9, s8, s3
	s_sub_i32 s7, s7, s9
	s_add_i32 s10, s8, 1
	s_sub_i32 s9, s7, s3
	s_cmp_ge_u32 s7, s3
	s_cselect_b32 s8, s10, s8
	s_cselect_b32 s7, s9, s7
	s_add_i32 s9, s8, 1
	s_cmp_ge_u32 s7, s3
	s_cselect_b32 s3, s9, s8
	s_xor_b32 s3, s3, s6
	s_sub_i32 s30, s3, s6
	s_mul_i32 s4, s30, s4
	v_cmp_gt_i32_e32 vcc, s4, v0
	s_and_saveexec_b64 s[6:7], vcc
	s_cbranch_execz .LBB0_10
; %bb.2:
	s_load_dword s3, s[0:1], 0x28
	s_load_dwordx2 s[6:7], s[0:1], 0x0
	v_mov_b32_e32 v5, 0
	s_mov_b64 s[22:23], 0
	s_mov_b64 s[12:13], 0
	s_waitcnt lgkmcnt(0)
	s_ashr_i32 s9, s3, 31
	s_mul_hi_u32 s10, s3, s2
	s_mul_i32 s9, s9, s2
	s_mul_i32 s8, s3, s2
	s_add_i32 s9, s10, s9
	s_lshl_b64 s[2:3], s[8:9], 2
	s_add_u32 s6, s6, s2
	s_addc_u32 s7, s7, s3
	s_and_b32 s2, s33, 3
	s_cmp_eq_u32 s2, 0
	s_cselect_b64 s[14:15], -1, 0
	s_cmp_lg_u32 s2, 0
	s_cselect_b64 s[8:9], -1, 0
	s_cmp_gt_i32 s33, 0
	s_cselect_b64 s[20:21], -1, 0
	s_cmp_lt_i32 s33, 1
	s_cselect_b64 s[16:17], -1, 0
	s_abs_i32 s38, s30
	v_cvt_f32_u32_e32 v1, s38
	s_sub_i32 s2, 0, s38
	s_ashr_i32 s39, s30, 31
	s_mov_b64 s[10:11], 0
	v_rcp_iflag_f32_e32 v1, v1
	s_nop 0
	v_mul_f32_e32 v1, 0x4f7ffffe, v1
	v_cvt_u32_f32_e32 v1, v1
	v_mul_lo_u32 v2, s2, v1
	v_mul_hi_u32 v2, v1, v2
	v_add_u32_e32 v1, v1, v2
	v_mul_hi_u32 v2, v0, v1
	v_mul_lo_u32 v3, v2, s38
	v_sub_u32_e32 v3, v0, v3
	v_add_u32_e32 v4, 1, v2
	v_cmp_le_u32_e32 vcc, s38, v3
	s_mov_b64 s[2:3], 0
	s_nop 0
	v_cndmask_b32_e32 v2, v2, v4, vcc
	v_subrev_u32_e32 v4, s38, v3
	v_cndmask_b32_e32 v3, v3, v4, vcc
	v_add_u32_e32 v4, 1, v2
	v_cmp_le_u32_e32 vcc, s38, v3
	s_nop 1
	v_cndmask_b32_e32 v2, v2, v4, vcc
	v_xor_b32_e32 v2, s39, v2
	v_subrev_u32_e32 v2, s39, v2
	v_mul_lo_u32 v3, v2, s30
	v_sub_u32_e32 v4, v0, v3
	v_mul_lo_u32 v2, v2, s5
	v_ashrrev_i32_e32 v3, 31, v2
	v_mul_lo_u32 v6, v4, s33
	v_lshl_add_u64 v[2:3], v[2:3], 2, s[6:7]
	v_ashrrev_i32_e32 v7, 31, v6
	v_lshl_add_u64 v[2:3], v[6:7], 2, v[2:3]
	v_and_b32_e32 v4, 15, v2
	v_cmp_ne_u64_e32 vcc, 0, v[4:5]
	s_or_b64 s[18:19], s[8:9], vcc
	s_mov_b64 s[8:9], 0
	s_and_saveexec_b64 s[24:25], s[18:19]
	s_xor_b64 s[18:19], exec, s[24:25]
	s_cbranch_execnz .LBB0_11
; %bb.3:
	s_andn2_saveexec_b64 s[18:19], s[18:19]
	s_cbranch_execnz .LBB0_21
.LBB0_4:
	s_or_b64 exec, exec, s[18:19]
	s_and_saveexec_b64 s[16:17], s[22:23]
	s_cbranch_execnz .LBB0_22
.LBB0_5:
	s_or_b64 exec, exec, s[16:17]
	s_and_saveexec_b64 s[0:1], s[12:13]
	s_cbranch_execnz .LBB0_35
.LBB0_6:
	s_or_b64 exec, exec, s[0:1]
	s_and_saveexec_b64 s[0:1], s[10:11]
	s_xor_b64 s[0:1], exec, s[0:1]
	s_cbranch_execnz .LBB0_36
.LBB0_7:
	s_or_b64 exec, exec, s[0:1]
	s_and_saveexec_b64 s[0:1], s[2:3]
	s_cbranch_execnz .LBB0_37
.LBB0_8:
	s_or_b64 exec, exec, s[0:1]
	s_and_b64 exec, exec, s[8:9]
.LBB0_9:
	; divergent unreachable
.LBB0_10:
	s_endpgm
.LBB0_11:
	v_sub_u32_e32 v2, 0, v2
	v_bfe_u32 v2, v2, 2, 2
	v_min_i32_e32 v2, s33, v2
	v_cmp_gt_i32_e32 vcc, 1, v2
	s_mov_b64 s[24:25], 0
	s_and_saveexec_b64 s[8:9], vcc
	s_xor_b64 s[8:9], exec, s[8:9]
	s_cbranch_execz .LBB0_19
; %bb.12:
	v_sub_u32_e32 v2, s33, v2
	v_cmp_gt_i32_e32 vcc, 4, v2
	s_mov_b64 s[12:13], -1
	s_mov_b64 s[26:27], 0
	s_mov_b64 s[28:29], 0
	s_and_saveexec_b64 s[10:11], vcc
	s_cbranch_execz .LBB0_18
; %bb.13:
	v_ashrrev_i32_e32 v3, 31, v2
	v_lshrrev_b32_e32 v3, 30, v3
	v_add_u32_e32 v3, v2, v3
	v_and_b32_e32 v3, -4, v3
	v_cmp_ge_i32_e32 vcc, v3, v2
	s_mov_b64 s[22:23], -1
	s_and_saveexec_b64 s[12:13], vcc
	s_cbranch_execz .LBB0_17
; %bb.14:
	s_and_b64 vcc, exec, s[20:21]
	s_cbranch_vccnz .LBB0_39
; %bb.15:
	s_mov_b64 s[20:21], -1
	s_mov_b64 s[22:23], 0
.LBB0_16:
	s_and_b64 s[26:27], s[22:23], exec
	s_xor_b64 s[22:23], exec, -1
	s_and_b64 s[24:25], s[20:21], exec
.LBB0_17:
	s_or_b64 exec, exec, s[12:13]
	s_and_b64 s[28:29], s[26:27], exec
	s_xor_b64 s[12:13], exec, -1
	s_and_b64 s[26:27], s[22:23], exec
	s_and_b64 s[22:23], s[24:25], exec
.LBB0_18:
	s_or_b64 exec, exec, s[10:11]
	s_and_b64 s[24:25], s[28:29], exec
	s_and_b64 s[10:11], s[12:13], exec
	;; [unrolled: 1-line block ×4, first 2 shown]
.LBB0_19:
	s_andn2_saveexec_b64 s[8:9], s[8:9]
	s_cbranch_execnz .LBB0_38
.LBB0_20:
	s_or_b64 exec, exec, s[8:9]
	s_and_b64 s[8:9], s[24:25], exec
	s_and_b64 s[10:11], s[10:11], exec
	;; [unrolled: 1-line block ×4, first 2 shown]
	s_andn2_saveexec_b64 s[18:19], s[18:19]
	s_cbranch_execz .LBB0_4
.LBB0_21:
	s_andn2_b64 s[20:21], s[22:23], exec
	s_and_b64 s[16:17], s[16:17], exec
	s_mov_b64 s[2:3], exec
	s_or_b64 s[22:23], s[20:21], s[16:17]
	s_or_b64 exec, exec, s[18:19]
	s_and_saveexec_b64 s[16:17], s[22:23]
	s_cbranch_execz .LBB0_5
.LBB0_22:
	s_load_dword s0, s[0:1], 0x54
	s_mov_b64 s[18:19], s[12:13]
	s_mov_b64 s[20:21], s[10:11]
	s_waitcnt lgkmcnt(0)
	s_and_b32 s40, s0, 0xffff
	v_add_u32_e32 v0, s40, v0
	v_cmp_gt_u32_e32 vcc, s4, v0
	s_and_saveexec_b64 s[0:1], vcc
	s_cbranch_execz .LBB0_34
; %bb.23:
	s_sub_i32 s41, 0, s30
	s_mov_b64 s[18:19], 0
	v_mov_b32_e32 v3, 0
	s_xor_b64 s[22:23], s[14:15], -1
                                        ; implicit-def: $sgpr20_sgpr21
                                        ; implicit-def: $sgpr14_sgpr15
                                        ; implicit-def: $sgpr24_sgpr25
	s_branch .LBB0_25
.LBB0_24:                               ;   in Loop: Header=BB0_25 Depth=1
	s_or_b64 exec, exec, s[30:31]
	s_xor_b64 s[26:27], s[26:27], -1
	s_and_b64 s[28:29], exec, s[28:29]
	s_or_b64 s[18:19], s[28:29], s[18:19]
	s_andn2_b64 s[14:15], s[14:15], exec
	s_and_b64 s[28:29], s[24:25], exec
	s_andn2_b64 s[20:21], s[20:21], exec
	s_and_b64 s[26:27], s[26:27], exec
	s_or_b64 s[14:15], s[14:15], s[28:29]
	s_or_b64 s[20:21], s[20:21], s[26:27]
	s_andn2_b64 exec, exec, s[18:19]
	s_cbranch_execz .LBB0_31
.LBB0_25:                               ; =>This Inner Loop Header: Depth=1
	v_sub_u32_e32 v4, 0, v0
	v_max_i32_e32 v4, v0, v4
	v_mul_hi_u32 v5, v4, v1
	v_mul_lo_u32 v6, v5, s38
	v_sub_u32_e32 v4, v4, v6
	v_add_u32_e32 v6, 1, v5
	v_cmp_le_u32_e32 vcc, s38, v4
	v_ashrrev_i32_e32 v2, 31, v0
	v_xor_b32_e32 v2, s39, v2
	v_cndmask_b32_e32 v5, v5, v6, vcc
	v_subrev_u32_e32 v6, s38, v4
	v_cndmask_b32_e32 v4, v4, v6, vcc
	v_add_u32_e32 v6, 1, v5
	v_cmp_le_u32_e32 vcc, s38, v4
	s_mov_b64 s[34:35], -1
                                        ; implicit-def: $sgpr30_sgpr31
	s_nop 0
	v_cndmask_b32_e32 v4, v5, v6, vcc
	v_xor_b32_e32 v4, v4, v2
	v_sub_u32_e32 v2, v4, v2
	v_mad_u64_u32 v[4:5], s[26:27], s41, v2, v[0:1]
	v_mul_lo_u32 v6, v2, s5
	v_ashrrev_i32_e32 v7, 31, v6
	v_mul_lo_u32 v4, v4, s33
	v_lshl_add_u64 v[6:7], v[6:7], 2, s[6:7]
	v_ashrrev_i32_e32 v5, 31, v4
	v_lshl_add_u64 v[4:5], v[4:5], 2, v[6:7]
	v_and_b32_e32 v2, 15, v4
	v_cmp_ne_u64_e32 vcc, 0, v[2:3]
	s_or_b64 s[36:37], s[22:23], vcc
                                        ; implicit-def: $sgpr26_sgpr27
	s_and_saveexec_b64 s[28:29], s[36:37]
	s_cbranch_execz .LBB0_29
; %bb.26:                               ;   in Loop: Header=BB0_25 Depth=1
	v_sub_u32_e32 v2, 0, v4
	v_bfe_u32 v2, v2, 2, 2
	v_min_i32_e32 v2, s33, v2
	v_sub_u32_e32 v2, s33, v2
	v_cmp_gt_i32_e32 vcc, 4, v2
	s_mov_b64 s[26:27], -1
	s_mov_b64 s[36:37], 0
	s_mov_b64 s[30:31], 0
	s_and_saveexec_b64 s[34:35], vcc
; %bb.27:                               ;   in Loop: Header=BB0_25 Depth=1
	v_ashrrev_i32_e32 v4, 31, v2
	v_lshrrev_b32_e32 v4, 30, v4
	v_add_u32_e32 v4, v2, v4
	v_and_b32_e32 v4, -4, v4
	v_cmp_ge_i32_e32 vcc, v4, v2
	s_mov_b64 s[30:31], exec
	s_xor_b64 s[26:27], exec, -1
	s_and_b64 s[36:37], vcc, exec
; %bb.28:                               ;   in Loop: Header=BB0_25 Depth=1
	s_or_b64 exec, exec, s[34:35]
	s_orn2_b64 s[34:35], s[36:37], exec
.LBB0_29:                               ;   in Loop: Header=BB0_25 Depth=1
	s_or_b64 exec, exec, s[28:29]
	s_andn2_b64 s[24:25], s[24:25], exec
	s_and_b64 s[30:31], s[30:31], exec
	s_mov_b64 s[28:29], -1
	s_or_b64 s[24:25], s[24:25], s[30:31]
	s_and_saveexec_b64 s[30:31], s[34:35]
	s_cbranch_execz .LBB0_24
; %bb.30:                               ;   in Loop: Header=BB0_25 Depth=1
	v_add_u32_e32 v0, s40, v0
	v_cmp_le_i32_e32 vcc, s4, v0
	s_andn2_b64 s[24:25], s[24:25], exec
	s_andn2_b64 s[26:27], s[26:27], exec
	s_orn2_b64 s[28:29], vcc, exec
	s_branch .LBB0_24
.LBB0_31:
	s_or_b64 exec, exec, s[18:19]
	s_mov_b64 s[4:5], -1
	s_mov_b64 s[6:7], s[12:13]
	s_and_saveexec_b64 s[18:19], s[20:21]
	s_xor_b64 s[18:19], exec, s[18:19]
; %bb.32:
	s_andn2_b64 s[6:7], s[12:13], exec
	s_and_b64 s[14:15], s[14:15], exec
	s_xor_b64 s[4:5], exec, -1
	s_or_b64 s[6:7], s[6:7], s[14:15]
; %bb.33:
	s_or_b64 exec, exec, s[18:19]
	s_andn2_b64 s[14:15], s[10:11], exec
	s_and_b64 s[4:5], s[4:5], exec
	s_or_b64 s[20:21], s[14:15], s[4:5]
	s_andn2_b64 s[4:5], s[12:13], exec
	s_and_b64 s[6:7], s[6:7], exec
	s_or_b64 s[18:19], s[4:5], s[6:7]
.LBB0_34:
	s_or_b64 exec, exec, s[0:1]
	s_andn2_b64 s[0:1], s[10:11], exec
	s_and_b64 s[4:5], s[20:21], exec
	s_or_b64 s[10:11], s[0:1], s[4:5]
	s_andn2_b64 s[0:1], s[12:13], exec
	s_and_b64 s[4:5], s[18:19], exec
	s_andn2_b64 s[2:3], s[2:3], exec
	s_or_b64 s[12:13], s[0:1], s[4:5]
	s_or_b64 exec, exec, s[16:17]
	s_and_saveexec_b64 s[0:1], s[12:13]
	s_cbranch_execz .LBB0_6
.LBB0_35:
	s_trap 2
	s_or_b64 s[8:9], s[8:9], exec
	s_or_b64 exec, exec, s[0:1]
	s_and_saveexec_b64 s[0:1], s[10:11]
	s_xor_b64 s[0:1], exec, s[0:1]
	s_cbranch_execz .LBB0_7
.LBB0_36:
	s_trap 2
	s_or_b64 s[8:9], s[8:9], exec
	s_or_b64 exec, exec, s[0:1]
	s_and_saveexec_b64 s[0:1], s[2:3]
	s_cbranch_execz .LBB0_8
.LBB0_37:
	s_or_b64 s[8:9], s[8:9], exec
	s_trap 2
	s_or_b64 exec, exec, s[0:1]
	s_and_b64 exec, exec, s[8:9]
	s_cbranch_execnz .LBB0_9
	s_branch .LBB0_10
.LBB0_38:
	s_trap 2
	s_or_b64 s[24:25], s[24:25], exec
	s_branch .LBB0_20
.LBB0_39:
	s_mov_b64 s[20:21], 0
	s_trap 2
	s_branch .LBB0_16
	.section	.rodata,"a",@progbits
	.p2align	6, 0x0
	.amdhsa_kernel _Z24reshape_and_cache_kernelIfhL18Fp8KVCacheDataType1EEvPKT_S3_PT0_S5_PKliiiiiiff
		.amdhsa_group_segment_fixed_size 0
		.amdhsa_private_segment_fixed_size 0
		.amdhsa_kernarg_size 328
		.amdhsa_user_sgpr_count 2
		.amdhsa_user_sgpr_dispatch_ptr 0
		.amdhsa_user_sgpr_queue_ptr 0
		.amdhsa_user_sgpr_kernarg_segment_ptr 1
		.amdhsa_user_sgpr_dispatch_id 0
		.amdhsa_user_sgpr_kernarg_preload_length 0
		.amdhsa_user_sgpr_kernarg_preload_offset 0
		.amdhsa_user_sgpr_private_segment_size 0
		.amdhsa_uses_dynamic_stack 0
		.amdhsa_enable_private_segment 0
		.amdhsa_system_sgpr_workgroup_id_x 1
		.amdhsa_system_sgpr_workgroup_id_y 0
		.amdhsa_system_sgpr_workgroup_id_z 0
		.amdhsa_system_sgpr_workgroup_info 0
		.amdhsa_system_vgpr_workitem_id 0
		.amdhsa_next_free_vgpr 8
		.amdhsa_next_free_sgpr 42
		.amdhsa_accum_offset 8
		.amdhsa_reserve_vcc 1
		.amdhsa_float_round_mode_32 0
		.amdhsa_float_round_mode_16_64 0
		.amdhsa_float_denorm_mode_32 3
		.amdhsa_float_denorm_mode_16_64 3
		.amdhsa_dx10_clamp 1
		.amdhsa_ieee_mode 1
		.amdhsa_fp16_overflow 0
		.amdhsa_tg_split 0
		.amdhsa_exception_fp_ieee_invalid_op 0
		.amdhsa_exception_fp_denorm_src 0
		.amdhsa_exception_fp_ieee_div_zero 0
		.amdhsa_exception_fp_ieee_overflow 0
		.amdhsa_exception_fp_ieee_underflow 0
		.amdhsa_exception_fp_ieee_inexact 0
		.amdhsa_exception_int_div_zero 0
	.end_amdhsa_kernel
	.section	.text._Z24reshape_and_cache_kernelIfhL18Fp8KVCacheDataType1EEvPKT_S3_PT0_S5_PKliiiiiiff,"axG",@progbits,_Z24reshape_and_cache_kernelIfhL18Fp8KVCacheDataType1EEvPKT_S3_PT0_S5_PKliiiiiiff,comdat
.Lfunc_end0:
	.size	_Z24reshape_and_cache_kernelIfhL18Fp8KVCacheDataType1EEvPKT_S3_PT0_S5_PKliiiiiiff, .Lfunc_end0-_Z24reshape_and_cache_kernelIfhL18Fp8KVCacheDataType1EEvPKT_S3_PT0_S5_PKliiiiiiff
                                        ; -- End function
	.set _Z24reshape_and_cache_kernelIfhL18Fp8KVCacheDataType1EEvPKT_S3_PT0_S5_PKliiiiiiff.num_vgpr, 8
	.set _Z24reshape_and_cache_kernelIfhL18Fp8KVCacheDataType1EEvPKT_S3_PT0_S5_PKliiiiiiff.num_agpr, 0
	.set _Z24reshape_and_cache_kernelIfhL18Fp8KVCacheDataType1EEvPKT_S3_PT0_S5_PKliiiiiiff.numbered_sgpr, 42
	.set _Z24reshape_and_cache_kernelIfhL18Fp8KVCacheDataType1EEvPKT_S3_PT0_S5_PKliiiiiiff.num_named_barrier, 0
	.set _Z24reshape_and_cache_kernelIfhL18Fp8KVCacheDataType1EEvPKT_S3_PT0_S5_PKliiiiiiff.private_seg_size, 0
	.set _Z24reshape_and_cache_kernelIfhL18Fp8KVCacheDataType1EEvPKT_S3_PT0_S5_PKliiiiiiff.uses_vcc, 1
	.set _Z24reshape_and_cache_kernelIfhL18Fp8KVCacheDataType1EEvPKT_S3_PT0_S5_PKliiiiiiff.uses_flat_scratch, 0
	.set _Z24reshape_and_cache_kernelIfhL18Fp8KVCacheDataType1EEvPKT_S3_PT0_S5_PKliiiiiiff.has_dyn_sized_stack, 0
	.set _Z24reshape_and_cache_kernelIfhL18Fp8KVCacheDataType1EEvPKT_S3_PT0_S5_PKliiiiiiff.has_recursion, 0
	.set _Z24reshape_and_cache_kernelIfhL18Fp8KVCacheDataType1EEvPKT_S3_PT0_S5_PKliiiiiiff.has_indirect_call, 0
	.section	.AMDGPU.csdata,"",@progbits
; Kernel info:
; codeLenInByte = 1412
; TotalNumSgprs: 48
; NumVgprs: 8
; NumAgprs: 0
; TotalNumVgprs: 8
; ScratchSize: 0
; MemoryBound: 0
; FloatMode: 240
; IeeeMode: 1
; LDSByteSize: 0 bytes/workgroup (compile time only)
; SGPRBlocks: 5
; VGPRBlocks: 0
; NumSGPRsForWavesPerEU: 48
; NumVGPRsForWavesPerEU: 8
; AccumOffset: 8
; Occupancy: 8
; WaveLimiterHint : 0
; COMPUTE_PGM_RSRC2:SCRATCH_EN: 0
; COMPUTE_PGM_RSRC2:USER_SGPR: 2
; COMPUTE_PGM_RSRC2:TRAP_HANDLER: 0
; COMPUTE_PGM_RSRC2:TGID_X_EN: 1
; COMPUTE_PGM_RSRC2:TGID_Y_EN: 0
; COMPUTE_PGM_RSRC2:TGID_Z_EN: 0
; COMPUTE_PGM_RSRC2:TIDIG_COMP_CNT: 0
; COMPUTE_PGM_RSRC3_GFX90A:ACCUM_OFFSET: 1
; COMPUTE_PGM_RSRC3_GFX90A:TG_SPLIT: 0
	.section	.text._Z24reshape_and_cache_kernelI14__hip_bfloat16hL18Fp8KVCacheDataType1EEvPKT_S4_PT0_S6_PKliiiiiiff,"axG",@progbits,_Z24reshape_and_cache_kernelI14__hip_bfloat16hL18Fp8KVCacheDataType1EEvPKT_S4_PT0_S6_PKliiiiiiff,comdat
	.protected	_Z24reshape_and_cache_kernelI14__hip_bfloat16hL18Fp8KVCacheDataType1EEvPKT_S4_PT0_S6_PKliiiiiiff ; -- Begin function _Z24reshape_and_cache_kernelI14__hip_bfloat16hL18Fp8KVCacheDataType1EEvPKT_S4_PT0_S6_PKliiiiiiff
	.globl	_Z24reshape_and_cache_kernelI14__hip_bfloat16hL18Fp8KVCacheDataType1EEvPKT_S4_PT0_S6_PKliiiiiiff
	.p2align	8
	.type	_Z24reshape_and_cache_kernelI14__hip_bfloat16hL18Fp8KVCacheDataType1EEvPKT_S4_PT0_S6_PKliiiiiiff,@function
_Z24reshape_and_cache_kernelI14__hip_bfloat16hL18Fp8KVCacheDataType1EEvPKT_S4_PT0_S6_PKliiiiiiff: ; @_Z24reshape_and_cache_kernelI14__hip_bfloat16hL18Fp8KVCacheDataType1EEvPKT_S4_PT0_S6_PKliiiiiiff
; %bb.0:
	s_load_dwordx2 s[4:5], s[0:1], 0x20
	s_mov_b32 s3, 0
	s_lshl_b64 s[6:7], s[2:3], 3
	s_waitcnt lgkmcnt(0)
	s_add_u32 s4, s4, s6
	s_addc_u32 s5, s5, s7
	s_load_dwordx2 s[4:5], s[4:5], 0x0
	s_waitcnt lgkmcnt(0)
	v_cmp_lt_i64_e64 s[4:5], s[4:5], 0
	s_and_b64 vcc, exec, s[4:5]
	s_cbranch_vccnz .LBB1_10
; %bb.1:
	s_load_dword s33, s[0:1], 0x3c
	s_load_dwordx2 s[4:5], s[0:1], 0x30
	s_waitcnt lgkmcnt(0)
	s_abs_i32 s3, s33
	v_cvt_f32_u32_e32 v1, s3
	s_sub_i32 s8, 0, s3
	s_abs_i32 s7, s5
	s_xor_b32 s6, s5, s33
	v_rcp_iflag_f32_e32 v1, v1
	s_ashr_i32 s6, s6, 31
	v_mul_f32_e32 v1, 0x4f7ffffe, v1
	v_cvt_u32_f32_e32 v1, v1
	s_nop 0
	v_readfirstlane_b32 s9, v1
	s_mul_i32 s8, s8, s9
	s_mul_hi_u32 s8, s9, s8
	s_add_i32 s9, s9, s8
	s_mul_hi_u32 s8, s7, s9
	s_mul_i32 s9, s8, s3
	s_sub_i32 s7, s7, s9
	s_add_i32 s10, s8, 1
	s_sub_i32 s9, s7, s3
	s_cmp_ge_u32 s7, s3
	s_cselect_b32 s8, s10, s8
	s_cselect_b32 s7, s9, s7
	s_add_i32 s9, s8, 1
	s_cmp_ge_u32 s7, s3
	s_cselect_b32 s3, s9, s8
	s_xor_b32 s3, s3, s6
	s_sub_i32 s30, s3, s6
	s_mul_i32 s4, s30, s4
	v_cmp_gt_i32_e32 vcc, s4, v0
	s_and_saveexec_b64 s[6:7], vcc
	s_cbranch_execz .LBB1_10
; %bb.2:
	s_load_dword s3, s[0:1], 0x28
	s_load_dwordx2 s[6:7], s[0:1], 0x0
	v_mov_b32_e32 v5, 0
	s_mov_b64 s[22:23], 0
	s_mov_b64 s[12:13], 0
	s_waitcnt lgkmcnt(0)
	s_ashr_i32 s9, s3, 31
	s_mul_hi_u32 s10, s3, s2
	s_mul_i32 s9, s9, s2
	s_mul_i32 s8, s3, s2
	s_add_i32 s9, s10, s9
	s_lshl_b64 s[2:3], s[8:9], 1
	s_add_u32 s6, s6, s2
	s_addc_u32 s7, s7, s3
	s_and_b32 s2, s33, 7
	s_cmp_eq_u32 s2, 0
	s_cselect_b64 s[14:15], -1, 0
	s_cmp_lg_u32 s2, 0
	s_cselect_b64 s[8:9], -1, 0
	s_cmp_gt_i32 s33, 0
	s_cselect_b64 s[20:21], -1, 0
	s_cmp_lt_i32 s33, 1
	s_cselect_b64 s[16:17], -1, 0
	s_abs_i32 s38, s30
	v_cvt_f32_u32_e32 v1, s38
	s_sub_i32 s2, 0, s38
	s_ashr_i32 s39, s30, 31
	s_mov_b64 s[10:11], 0
	v_rcp_iflag_f32_e32 v1, v1
	s_nop 0
	v_mul_f32_e32 v1, 0x4f7ffffe, v1
	v_cvt_u32_f32_e32 v1, v1
	v_mul_lo_u32 v2, s2, v1
	v_mul_hi_u32 v2, v1, v2
	v_add_u32_e32 v1, v1, v2
	v_mul_hi_u32 v2, v0, v1
	v_mul_lo_u32 v3, v2, s38
	v_sub_u32_e32 v3, v0, v3
	v_add_u32_e32 v4, 1, v2
	v_cmp_le_u32_e32 vcc, s38, v3
	s_mov_b64 s[2:3], 0
	s_nop 0
	v_cndmask_b32_e32 v2, v2, v4, vcc
	v_subrev_u32_e32 v4, s38, v3
	v_cndmask_b32_e32 v3, v3, v4, vcc
	v_add_u32_e32 v4, 1, v2
	v_cmp_le_u32_e32 vcc, s38, v3
	s_nop 1
	v_cndmask_b32_e32 v2, v2, v4, vcc
	v_xor_b32_e32 v2, s39, v2
	v_subrev_u32_e32 v2, s39, v2
	v_mul_lo_u32 v3, v2, s30
	v_sub_u32_e32 v4, v0, v3
	v_mul_lo_u32 v2, v2, s5
	v_ashrrev_i32_e32 v3, 31, v2
	v_mul_lo_u32 v6, v4, s33
	v_lshl_add_u64 v[2:3], v[2:3], 1, s[6:7]
	v_ashrrev_i32_e32 v7, 31, v6
	v_lshl_add_u64 v[2:3], v[6:7], 1, v[2:3]
	v_and_b32_e32 v4, 15, v2
	v_cmp_ne_u64_e32 vcc, 0, v[4:5]
	s_or_b64 s[18:19], s[8:9], vcc
	s_mov_b64 s[8:9], 0
	s_and_saveexec_b64 s[24:25], s[18:19]
	s_xor_b64 s[18:19], exec, s[24:25]
	s_cbranch_execnz .LBB1_11
; %bb.3:
	s_andn2_saveexec_b64 s[18:19], s[18:19]
	s_cbranch_execnz .LBB1_21
.LBB1_4:
	s_or_b64 exec, exec, s[18:19]
	s_and_saveexec_b64 s[16:17], s[22:23]
	s_cbranch_execnz .LBB1_22
.LBB1_5:
	s_or_b64 exec, exec, s[16:17]
	s_and_saveexec_b64 s[0:1], s[12:13]
	s_cbranch_execnz .LBB1_35
.LBB1_6:
	s_or_b64 exec, exec, s[0:1]
	s_and_saveexec_b64 s[0:1], s[10:11]
	s_xor_b64 s[0:1], exec, s[0:1]
	s_cbranch_execnz .LBB1_36
.LBB1_7:
	s_or_b64 exec, exec, s[0:1]
	s_and_saveexec_b64 s[0:1], s[2:3]
	s_cbranch_execnz .LBB1_37
.LBB1_8:
	s_or_b64 exec, exec, s[0:1]
	s_and_b64 exec, exec, s[8:9]
.LBB1_9:
	; divergent unreachable
.LBB1_10:
	s_endpgm
.LBB1_11:
	v_sub_u32_e32 v2, 0, v2
	v_bfe_u32 v2, v2, 1, 3
	v_min_i32_e32 v2, s33, v2
	v_cmp_gt_i32_e32 vcc, 1, v2
	s_mov_b64 s[24:25], 0
	s_and_saveexec_b64 s[8:9], vcc
	s_xor_b64 s[8:9], exec, s[8:9]
	s_cbranch_execz .LBB1_19
; %bb.12:
	v_sub_u32_e32 v2, s33, v2
	v_cmp_gt_i32_e32 vcc, 8, v2
	s_mov_b64 s[12:13], -1
	s_mov_b64 s[26:27], 0
	s_mov_b64 s[28:29], 0
	s_and_saveexec_b64 s[10:11], vcc
	s_cbranch_execz .LBB1_18
; %bb.13:
	v_ashrrev_i32_e32 v3, 31, v2
	v_lshrrev_b32_e32 v3, 29, v3
	v_add_u32_e32 v3, v2, v3
	v_and_b32_e32 v3, -8, v3
	v_cmp_ge_i32_e32 vcc, v3, v2
	s_mov_b64 s[22:23], -1
	s_and_saveexec_b64 s[12:13], vcc
	s_cbranch_execz .LBB1_17
; %bb.14:
	s_and_b64 vcc, exec, s[20:21]
	s_cbranch_vccnz .LBB1_39
; %bb.15:
	s_mov_b64 s[20:21], -1
	s_mov_b64 s[22:23], 0
.LBB1_16:
	s_and_b64 s[26:27], s[22:23], exec
	s_xor_b64 s[22:23], exec, -1
	s_and_b64 s[24:25], s[20:21], exec
.LBB1_17:
	s_or_b64 exec, exec, s[12:13]
	s_and_b64 s[28:29], s[26:27], exec
	s_xor_b64 s[12:13], exec, -1
	s_and_b64 s[26:27], s[22:23], exec
	s_and_b64 s[22:23], s[24:25], exec
.LBB1_18:
	s_or_b64 exec, exec, s[10:11]
	s_and_b64 s[24:25], s[28:29], exec
	s_and_b64 s[10:11], s[12:13], exec
	s_and_b64 s[12:13], s[26:27], exec
	s_and_b64 s[22:23], s[22:23], exec
.LBB1_19:
	s_andn2_saveexec_b64 s[8:9], s[8:9]
	s_cbranch_execnz .LBB1_38
.LBB1_20:
	s_or_b64 exec, exec, s[8:9]
	s_and_b64 s[8:9], s[24:25], exec
	s_and_b64 s[10:11], s[10:11], exec
	;; [unrolled: 1-line block ×4, first 2 shown]
	s_andn2_saveexec_b64 s[18:19], s[18:19]
	s_cbranch_execz .LBB1_4
.LBB1_21:
	s_andn2_b64 s[20:21], s[22:23], exec
	s_and_b64 s[16:17], s[16:17], exec
	s_mov_b64 s[2:3], exec
	s_or_b64 s[22:23], s[20:21], s[16:17]
	s_or_b64 exec, exec, s[18:19]
	s_and_saveexec_b64 s[16:17], s[22:23]
	s_cbranch_execz .LBB1_5
.LBB1_22:
	s_load_dword s0, s[0:1], 0x54
	s_mov_b64 s[18:19], s[12:13]
	s_mov_b64 s[20:21], s[10:11]
	s_waitcnt lgkmcnt(0)
	s_and_b32 s40, s0, 0xffff
	v_add_u32_e32 v0, s40, v0
	v_cmp_gt_u32_e32 vcc, s4, v0
	s_and_saveexec_b64 s[0:1], vcc
	s_cbranch_execz .LBB1_34
; %bb.23:
	s_sub_i32 s41, 0, s30
	s_mov_b64 s[18:19], 0
	v_mov_b32_e32 v3, 0
	s_xor_b64 s[22:23], s[14:15], -1
                                        ; implicit-def: $sgpr20_sgpr21
                                        ; implicit-def: $sgpr14_sgpr15
                                        ; implicit-def: $sgpr24_sgpr25
	s_branch .LBB1_25
.LBB1_24:                               ;   in Loop: Header=BB1_25 Depth=1
	s_or_b64 exec, exec, s[30:31]
	s_xor_b64 s[26:27], s[26:27], -1
	s_and_b64 s[28:29], exec, s[28:29]
	s_or_b64 s[18:19], s[28:29], s[18:19]
	s_andn2_b64 s[14:15], s[14:15], exec
	s_and_b64 s[28:29], s[24:25], exec
	s_andn2_b64 s[20:21], s[20:21], exec
	s_and_b64 s[26:27], s[26:27], exec
	s_or_b64 s[14:15], s[14:15], s[28:29]
	s_or_b64 s[20:21], s[20:21], s[26:27]
	s_andn2_b64 exec, exec, s[18:19]
	s_cbranch_execz .LBB1_31
.LBB1_25:                               ; =>This Inner Loop Header: Depth=1
	v_sub_u32_e32 v4, 0, v0
	v_max_i32_e32 v4, v0, v4
	v_mul_hi_u32 v5, v4, v1
	v_mul_lo_u32 v6, v5, s38
	v_sub_u32_e32 v4, v4, v6
	v_add_u32_e32 v6, 1, v5
	v_cmp_le_u32_e32 vcc, s38, v4
	v_ashrrev_i32_e32 v2, 31, v0
	v_xor_b32_e32 v2, s39, v2
	v_cndmask_b32_e32 v5, v5, v6, vcc
	v_subrev_u32_e32 v6, s38, v4
	v_cndmask_b32_e32 v4, v4, v6, vcc
	v_add_u32_e32 v6, 1, v5
	v_cmp_le_u32_e32 vcc, s38, v4
	s_mov_b64 s[34:35], -1
                                        ; implicit-def: $sgpr30_sgpr31
	s_nop 0
	v_cndmask_b32_e32 v4, v5, v6, vcc
	v_xor_b32_e32 v4, v4, v2
	v_sub_u32_e32 v2, v4, v2
	v_mad_u64_u32 v[4:5], s[26:27], s41, v2, v[0:1]
	v_mul_lo_u32 v6, v2, s5
	v_ashrrev_i32_e32 v7, 31, v6
	v_mul_lo_u32 v4, v4, s33
	v_lshl_add_u64 v[6:7], v[6:7], 1, s[6:7]
	v_ashrrev_i32_e32 v5, 31, v4
	v_lshl_add_u64 v[4:5], v[4:5], 1, v[6:7]
	v_and_b32_e32 v2, 15, v4
	v_cmp_ne_u64_e32 vcc, 0, v[2:3]
	s_or_b64 s[36:37], s[22:23], vcc
                                        ; implicit-def: $sgpr26_sgpr27
	s_and_saveexec_b64 s[28:29], s[36:37]
	s_cbranch_execz .LBB1_29
; %bb.26:                               ;   in Loop: Header=BB1_25 Depth=1
	v_sub_u32_e32 v2, 0, v4
	v_bfe_u32 v2, v2, 1, 3
	v_min_i32_e32 v2, s33, v2
	v_sub_u32_e32 v2, s33, v2
	v_cmp_gt_i32_e32 vcc, 8, v2
	s_mov_b64 s[26:27], -1
	s_mov_b64 s[36:37], 0
	s_mov_b64 s[30:31], 0
	s_and_saveexec_b64 s[34:35], vcc
; %bb.27:                               ;   in Loop: Header=BB1_25 Depth=1
	v_ashrrev_i32_e32 v4, 31, v2
	v_lshrrev_b32_e32 v4, 29, v4
	v_add_u32_e32 v4, v2, v4
	v_and_b32_e32 v4, -8, v4
	v_cmp_ge_i32_e32 vcc, v4, v2
	s_mov_b64 s[30:31], exec
	s_xor_b64 s[26:27], exec, -1
	s_and_b64 s[36:37], vcc, exec
; %bb.28:                               ;   in Loop: Header=BB1_25 Depth=1
	s_or_b64 exec, exec, s[34:35]
	s_orn2_b64 s[34:35], s[36:37], exec
.LBB1_29:                               ;   in Loop: Header=BB1_25 Depth=1
	s_or_b64 exec, exec, s[28:29]
	s_andn2_b64 s[24:25], s[24:25], exec
	s_and_b64 s[30:31], s[30:31], exec
	s_mov_b64 s[28:29], -1
	s_or_b64 s[24:25], s[24:25], s[30:31]
	s_and_saveexec_b64 s[30:31], s[34:35]
	s_cbranch_execz .LBB1_24
; %bb.30:                               ;   in Loop: Header=BB1_25 Depth=1
	v_add_u32_e32 v0, s40, v0
	v_cmp_le_i32_e32 vcc, s4, v0
	s_andn2_b64 s[24:25], s[24:25], exec
	s_andn2_b64 s[26:27], s[26:27], exec
	s_orn2_b64 s[28:29], vcc, exec
	s_branch .LBB1_24
.LBB1_31:
	s_or_b64 exec, exec, s[18:19]
	s_mov_b64 s[4:5], -1
	s_mov_b64 s[6:7], s[12:13]
	s_and_saveexec_b64 s[18:19], s[20:21]
	s_xor_b64 s[18:19], exec, s[18:19]
; %bb.32:
	s_andn2_b64 s[6:7], s[12:13], exec
	s_and_b64 s[14:15], s[14:15], exec
	s_xor_b64 s[4:5], exec, -1
	s_or_b64 s[6:7], s[6:7], s[14:15]
; %bb.33:
	s_or_b64 exec, exec, s[18:19]
	s_andn2_b64 s[14:15], s[10:11], exec
	s_and_b64 s[4:5], s[4:5], exec
	s_or_b64 s[20:21], s[14:15], s[4:5]
	s_andn2_b64 s[4:5], s[12:13], exec
	s_and_b64 s[6:7], s[6:7], exec
	s_or_b64 s[18:19], s[4:5], s[6:7]
.LBB1_34:
	s_or_b64 exec, exec, s[0:1]
	s_andn2_b64 s[0:1], s[10:11], exec
	s_and_b64 s[4:5], s[20:21], exec
	s_or_b64 s[10:11], s[0:1], s[4:5]
	s_andn2_b64 s[0:1], s[12:13], exec
	s_and_b64 s[4:5], s[18:19], exec
	s_andn2_b64 s[2:3], s[2:3], exec
	s_or_b64 s[12:13], s[0:1], s[4:5]
	s_or_b64 exec, exec, s[16:17]
	s_and_saveexec_b64 s[0:1], s[12:13]
	s_cbranch_execz .LBB1_6
.LBB1_35:
	s_trap 2
	s_or_b64 s[8:9], s[8:9], exec
	s_or_b64 exec, exec, s[0:1]
	s_and_saveexec_b64 s[0:1], s[10:11]
	s_xor_b64 s[0:1], exec, s[0:1]
	s_cbranch_execz .LBB1_7
.LBB1_36:
	s_trap 2
	s_or_b64 s[8:9], s[8:9], exec
	s_or_b64 exec, exec, s[0:1]
	s_and_saveexec_b64 s[0:1], s[2:3]
	s_cbranch_execz .LBB1_8
.LBB1_37:
	s_or_b64 s[8:9], s[8:9], exec
	s_trap 2
	s_or_b64 exec, exec, s[0:1]
	s_and_b64 exec, exec, s[8:9]
	s_cbranch_execnz .LBB1_9
	s_branch .LBB1_10
.LBB1_38:
	s_trap 2
	s_or_b64 s[24:25], s[24:25], exec
	s_branch .LBB1_20
.LBB1_39:
	s_mov_b64 s[20:21], 0
	s_trap 2
	s_branch .LBB1_16
	.section	.rodata,"a",@progbits
	.p2align	6, 0x0
	.amdhsa_kernel _Z24reshape_and_cache_kernelI14__hip_bfloat16hL18Fp8KVCacheDataType1EEvPKT_S4_PT0_S6_PKliiiiiiff
		.amdhsa_group_segment_fixed_size 0
		.amdhsa_private_segment_fixed_size 0
		.amdhsa_kernarg_size 328
		.amdhsa_user_sgpr_count 2
		.amdhsa_user_sgpr_dispatch_ptr 0
		.amdhsa_user_sgpr_queue_ptr 0
		.amdhsa_user_sgpr_kernarg_segment_ptr 1
		.amdhsa_user_sgpr_dispatch_id 0
		.amdhsa_user_sgpr_kernarg_preload_length 0
		.amdhsa_user_sgpr_kernarg_preload_offset 0
		.amdhsa_user_sgpr_private_segment_size 0
		.amdhsa_uses_dynamic_stack 0
		.amdhsa_enable_private_segment 0
		.amdhsa_system_sgpr_workgroup_id_x 1
		.amdhsa_system_sgpr_workgroup_id_y 0
		.amdhsa_system_sgpr_workgroup_id_z 0
		.amdhsa_system_sgpr_workgroup_info 0
		.amdhsa_system_vgpr_workitem_id 0
		.amdhsa_next_free_vgpr 8
		.amdhsa_next_free_sgpr 42
		.amdhsa_accum_offset 8
		.amdhsa_reserve_vcc 1
		.amdhsa_float_round_mode_32 0
		.amdhsa_float_round_mode_16_64 0
		.amdhsa_float_denorm_mode_32 3
		.amdhsa_float_denorm_mode_16_64 3
		.amdhsa_dx10_clamp 1
		.amdhsa_ieee_mode 1
		.amdhsa_fp16_overflow 0
		.amdhsa_tg_split 0
		.amdhsa_exception_fp_ieee_invalid_op 0
		.amdhsa_exception_fp_denorm_src 0
		.amdhsa_exception_fp_ieee_div_zero 0
		.amdhsa_exception_fp_ieee_overflow 0
		.amdhsa_exception_fp_ieee_underflow 0
		.amdhsa_exception_fp_ieee_inexact 0
		.amdhsa_exception_int_div_zero 0
	.end_amdhsa_kernel
	.section	.text._Z24reshape_and_cache_kernelI14__hip_bfloat16hL18Fp8KVCacheDataType1EEvPKT_S4_PT0_S6_PKliiiiiiff,"axG",@progbits,_Z24reshape_and_cache_kernelI14__hip_bfloat16hL18Fp8KVCacheDataType1EEvPKT_S4_PT0_S6_PKliiiiiiff,comdat
.Lfunc_end1:
	.size	_Z24reshape_and_cache_kernelI14__hip_bfloat16hL18Fp8KVCacheDataType1EEvPKT_S4_PT0_S6_PKliiiiiiff, .Lfunc_end1-_Z24reshape_and_cache_kernelI14__hip_bfloat16hL18Fp8KVCacheDataType1EEvPKT_S4_PT0_S6_PKliiiiiiff
                                        ; -- End function
	.set _Z24reshape_and_cache_kernelI14__hip_bfloat16hL18Fp8KVCacheDataType1EEvPKT_S4_PT0_S6_PKliiiiiiff.num_vgpr, 8
	.set _Z24reshape_and_cache_kernelI14__hip_bfloat16hL18Fp8KVCacheDataType1EEvPKT_S4_PT0_S6_PKliiiiiiff.num_agpr, 0
	.set _Z24reshape_and_cache_kernelI14__hip_bfloat16hL18Fp8KVCacheDataType1EEvPKT_S4_PT0_S6_PKliiiiiiff.numbered_sgpr, 42
	.set _Z24reshape_and_cache_kernelI14__hip_bfloat16hL18Fp8KVCacheDataType1EEvPKT_S4_PT0_S6_PKliiiiiiff.num_named_barrier, 0
	.set _Z24reshape_and_cache_kernelI14__hip_bfloat16hL18Fp8KVCacheDataType1EEvPKT_S4_PT0_S6_PKliiiiiiff.private_seg_size, 0
	.set _Z24reshape_and_cache_kernelI14__hip_bfloat16hL18Fp8KVCacheDataType1EEvPKT_S4_PT0_S6_PKliiiiiiff.uses_vcc, 1
	.set _Z24reshape_and_cache_kernelI14__hip_bfloat16hL18Fp8KVCacheDataType1EEvPKT_S4_PT0_S6_PKliiiiiiff.uses_flat_scratch, 0
	.set _Z24reshape_and_cache_kernelI14__hip_bfloat16hL18Fp8KVCacheDataType1EEvPKT_S4_PT0_S6_PKliiiiiiff.has_dyn_sized_stack, 0
	.set _Z24reshape_and_cache_kernelI14__hip_bfloat16hL18Fp8KVCacheDataType1EEvPKT_S4_PT0_S6_PKliiiiiiff.has_recursion, 0
	.set _Z24reshape_and_cache_kernelI14__hip_bfloat16hL18Fp8KVCacheDataType1EEvPKT_S4_PT0_S6_PKliiiiiiff.has_indirect_call, 0
	.section	.AMDGPU.csdata,"",@progbits
; Kernel info:
; codeLenInByte = 1412
; TotalNumSgprs: 48
; NumVgprs: 8
; NumAgprs: 0
; TotalNumVgprs: 8
; ScratchSize: 0
; MemoryBound: 0
; FloatMode: 240
; IeeeMode: 1
; LDSByteSize: 0 bytes/workgroup (compile time only)
; SGPRBlocks: 5
; VGPRBlocks: 0
; NumSGPRsForWavesPerEU: 48
; NumVGPRsForWavesPerEU: 8
; AccumOffset: 8
; Occupancy: 8
; WaveLimiterHint : 0
; COMPUTE_PGM_RSRC2:SCRATCH_EN: 0
; COMPUTE_PGM_RSRC2:USER_SGPR: 2
; COMPUTE_PGM_RSRC2:TRAP_HANDLER: 0
; COMPUTE_PGM_RSRC2:TGID_X_EN: 1
; COMPUTE_PGM_RSRC2:TGID_Y_EN: 0
; COMPUTE_PGM_RSRC2:TGID_Z_EN: 0
; COMPUTE_PGM_RSRC2:TIDIG_COMP_CNT: 0
; COMPUTE_PGM_RSRC3_GFX90A:ACCUM_OFFSET: 1
; COMPUTE_PGM_RSRC3_GFX90A:TG_SPLIT: 0
	.section	.AMDGPU.gpr_maximums,"",@progbits
	.set amdgpu.max_num_vgpr, 0
	.set amdgpu.max_num_agpr, 0
	.set amdgpu.max_num_sgpr, 0
	.section	.AMDGPU.csdata,"",@progbits
	.type	__hip_cuid_c3d1086ef96456e7,@object ; @__hip_cuid_c3d1086ef96456e7
	.section	.bss,"aw",@nobits
	.globl	__hip_cuid_c3d1086ef96456e7
__hip_cuid_c3d1086ef96456e7:
	.byte	0                               ; 0x0
	.size	__hip_cuid_c3d1086ef96456e7, 1

	.ident	"AMD clang version 22.0.0git (https://github.com/RadeonOpenCompute/llvm-project roc-7.2.4 26084 f58b06dce1f9c15707c5f808fd002e18c2accf7e)"
	.section	".note.GNU-stack","",@progbits
	.addrsig
	.addrsig_sym __hip_cuid_c3d1086ef96456e7
	.amdgpu_metadata
---
amdhsa.kernels:
  - .agpr_count:     0
    .args:
      - .address_space:  global
        .offset:         0
        .size:           8
        .value_kind:     global_buffer
      - .actual_access:  read_only
        .address_space:  global
        .offset:         8
        .size:           8
        .value_kind:     global_buffer
      - .actual_access:  read_only
        .address_space:  global
        .offset:         16
        .size:           8
        .value_kind:     global_buffer
      - .actual_access:  read_only
        .address_space:  global
        .offset:         24
        .size:           8
        .value_kind:     global_buffer
      - .actual_access:  read_only
        .address_space:  global
        .offset:         32
        .size:           8
        .value_kind:     global_buffer
      - .offset:         40
        .size:           4
        .value_kind:     by_value
      - .offset:         44
        .size:           4
        .value_kind:     by_value
      - .offset:         48
        .size:           4
        .value_kind:     by_value
      - .offset:         52
        .size:           4
        .value_kind:     by_value
      - .offset:         56
        .size:           4
        .value_kind:     by_value
      - .offset:         60
        .size:           4
        .value_kind:     by_value
      - .offset:         64
        .size:           4
        .value_kind:     by_value
      - .offset:         68
        .size:           4
        .value_kind:     by_value
      - .offset:         72
        .size:           4
        .value_kind:     hidden_block_count_x
      - .offset:         76
        .size:           4
        .value_kind:     hidden_block_count_y
      - .offset:         80
        .size:           4
        .value_kind:     hidden_block_count_z
      - .offset:         84
        .size:           2
        .value_kind:     hidden_group_size_x
      - .offset:         86
        .size:           2
        .value_kind:     hidden_group_size_y
      - .offset:         88
        .size:           2
        .value_kind:     hidden_group_size_z
      - .offset:         90
        .size:           2
        .value_kind:     hidden_remainder_x
      - .offset:         92
        .size:           2
        .value_kind:     hidden_remainder_y
      - .offset:         94
        .size:           2
        .value_kind:     hidden_remainder_z
      - .offset:         112
        .size:           8
        .value_kind:     hidden_global_offset_x
      - .offset:         120
        .size:           8
        .value_kind:     hidden_global_offset_y
      - .offset:         128
        .size:           8
        .value_kind:     hidden_global_offset_z
      - .offset:         136
        .size:           2
        .value_kind:     hidden_grid_dims
    .group_segment_fixed_size: 0
    .kernarg_segment_align: 8
    .kernarg_segment_size: 328
    .language:       OpenCL C
    .language_version:
      - 2
      - 0
    .max_flat_workgroup_size: 1024
    .name:           _Z24reshape_and_cache_kernelIfhL18Fp8KVCacheDataType1EEvPKT_S3_PT0_S5_PKliiiiiiff
    .private_segment_fixed_size: 0
    .sgpr_count:     48
    .sgpr_spill_count: 0
    .symbol:         _Z24reshape_and_cache_kernelIfhL18Fp8KVCacheDataType1EEvPKT_S3_PT0_S5_PKliiiiiiff.kd
    .uniform_work_group_size: 1
    .uses_dynamic_stack: false
    .vgpr_count:     8
    .vgpr_spill_count: 0
    .wavefront_size: 64
  - .agpr_count:     0
    .args:
      - .address_space:  global
        .offset:         0
        .size:           8
        .value_kind:     global_buffer
      - .actual_access:  read_only
        .address_space:  global
        .offset:         8
        .size:           8
        .value_kind:     global_buffer
      - .actual_access:  read_only
        .address_space:  global
        .offset:         16
        .size:           8
        .value_kind:     global_buffer
      - .actual_access:  read_only
        .address_space:  global
        .offset:         24
        .size:           8
        .value_kind:     global_buffer
      - .actual_access:  read_only
        .address_space:  global
        .offset:         32
        .size:           8
        .value_kind:     global_buffer
      - .offset:         40
        .size:           4
        .value_kind:     by_value
      - .offset:         44
        .size:           4
        .value_kind:     by_value
      - .offset:         48
        .size:           4
        .value_kind:     by_value
      - .offset:         52
        .size:           4
        .value_kind:     by_value
      - .offset:         56
        .size:           4
        .value_kind:     by_value
      - .offset:         60
        .size:           4
        .value_kind:     by_value
      - .offset:         64
        .size:           4
        .value_kind:     by_value
      - .offset:         68
        .size:           4
        .value_kind:     by_value
      - .offset:         72
        .size:           4
        .value_kind:     hidden_block_count_x
      - .offset:         76
        .size:           4
        .value_kind:     hidden_block_count_y
      - .offset:         80
        .size:           4
        .value_kind:     hidden_block_count_z
      - .offset:         84
        .size:           2
        .value_kind:     hidden_group_size_x
      - .offset:         86
        .size:           2
        .value_kind:     hidden_group_size_y
      - .offset:         88
        .size:           2
        .value_kind:     hidden_group_size_z
      - .offset:         90
        .size:           2
        .value_kind:     hidden_remainder_x
      - .offset:         92
        .size:           2
        .value_kind:     hidden_remainder_y
      - .offset:         94
        .size:           2
        .value_kind:     hidden_remainder_z
      - .offset:         112
        .size:           8
        .value_kind:     hidden_global_offset_x
      - .offset:         120
        .size:           8
        .value_kind:     hidden_global_offset_y
      - .offset:         128
        .size:           8
        .value_kind:     hidden_global_offset_z
      - .offset:         136
        .size:           2
        .value_kind:     hidden_grid_dims
    .group_segment_fixed_size: 0
    .kernarg_segment_align: 8
    .kernarg_segment_size: 328
    .language:       OpenCL C
    .language_version:
      - 2
      - 0
    .max_flat_workgroup_size: 1024
    .name:           _Z24reshape_and_cache_kernelI14__hip_bfloat16hL18Fp8KVCacheDataType1EEvPKT_S4_PT0_S6_PKliiiiiiff
    .private_segment_fixed_size: 0
    .sgpr_count:     48
    .sgpr_spill_count: 0
    .symbol:         _Z24reshape_and_cache_kernelI14__hip_bfloat16hL18Fp8KVCacheDataType1EEvPKT_S4_PT0_S6_PKliiiiiiff.kd
    .uniform_work_group_size: 1
    .uses_dynamic_stack: false
    .vgpr_count:     8
    .vgpr_spill_count: 0
    .wavefront_size: 64
amdhsa.target:   amdgcn-amd-amdhsa--gfx950
amdhsa.version:
  - 1
  - 2
...

	.end_amdgpu_metadata
